;; amdgpu-corpus repo=ROCm/rocFFT kind=compiled arch=gfx950 opt=O3
	.text
	.amdgcn_target "amdgcn-amd-amdhsa--gfx950"
	.amdhsa_code_object_version 6
	.protected	bluestein_single_fwd_len360_dim1_dp_op_CI_CI ; -- Begin function bluestein_single_fwd_len360_dim1_dp_op_CI_CI
	.globl	bluestein_single_fwd_len360_dim1_dp_op_CI_CI
	.p2align	8
	.type	bluestein_single_fwd_len360_dim1_dp_op_CI_CI,@function
bluestein_single_fwd_len360_dim1_dp_op_CI_CI: ; @bluestein_single_fwd_len360_dim1_dp_op_CI_CI
; %bb.0:
	s_load_dwordx4 s[8:11], s[0:1], 0x28
	v_mul_u32_u24_e32 v1, 0x445, v0
	v_lshrrev_b32_e32 v1, 16, v1
	v_lshl_add_u32 v80, s2, 2, v1
	v_mov_b32_e32 v81, 0
	s_waitcnt lgkmcnt(0)
	v_cmp_gt_u64_e32 vcc, s[8:9], v[80:81]
	s_and_saveexec_b64 s[2:3], vcc
	s_cbranch_execz .LBB0_15
; %bb.1:
	s_load_dwordx2 s[8:9], s[0:1], 0x0
	s_load_dwordx2 s[12:13], s[0:1], 0x38
	v_mul_lo_u16_e32 v2, 60, v1
	v_sub_u16_e32 v81, v0, v2
	v_and_b32_e32 v0, 3, v1
	v_mul_u32_u24_e32 v94, 0x168, v0
	v_cmp_gt_u16_e64 s[2:3], 36, v81
	v_lshlrev_b32_e32 v82, 4, v81
	v_lshlrev_b32_e32 v92, 4, v94
	s_and_saveexec_b64 s[14:15], s[2:3]
	s_cbranch_execz .LBB0_3
; %bb.2:
	s_load_dwordx2 s[4:5], s[0:1], 0x18
	v_mov_b32_e32 v0, s10
	v_mov_b32_e32 v1, s11
	;; [unrolled: 1-line block ×4, first 2 shown]
	s_waitcnt lgkmcnt(0)
	s_load_dwordx4 s[4:7], s[4:5], 0x0
	v_lshl_add_u64 v[60:61], s[8:9], 0, v[82:83]
	v_lshl_add_u32 v83, v81, 4, v92
	v_add_u32_e32 v88, v92, v82
	s_waitcnt lgkmcnt(0)
	v_mad_u64_u32 v[2:3], s[10:11], s6, v80, 0
	v_mad_u64_u32 v[4:5], s[10:11], s4, v81, 0
	v_mov_b32_e32 v6, v3
	v_mov_b32_e32 v8, v5
	v_mad_u64_u32 v[6:7], s[6:7], s7, v80, v[6:7]
	v_mov_b32_e32 v3, v6
	v_mad_u64_u32 v[6:7], s[6:7], s5, v81, v[8:9]
	v_mov_b32_e32 v5, v6
	v_lshl_add_u64 v[0:1], v[2:3], 4, v[0:1]
	v_lshl_add_u64 v[12:13], v[4:5], 4, v[0:1]
	s_mulk_i32 s5, 0x240
	v_mad_u64_u32 v[20:21], s[6:7], s4, v84, v[12:13]
	global_load_dwordx4 v[0:3], v[12:13], off
	v_add_u32_e32 v21, s5, v21
	global_load_dwordx4 v[4:7], v82, s[8:9]
	global_load_dwordx4 v[8:11], v82, s[8:9] offset:576
	v_mad_u64_u32 v[44:45], s[6:7], s4, v84, v[20:21]
	v_add_u32_e32 v45, s5, v45
	global_load_dwordx4 v[16:19], v[20:21], off
	global_load_dwordx4 v[12:15], v[44:45], off
	v_mad_u64_u32 v[48:49], s[6:7], s4, v84, v[44:45]
	v_add_u32_e32 v49, s5, v49
	global_load_dwordx4 v[20:23], v82, s[8:9] offset:1152
	global_load_dwordx4 v[24:27], v82, s[8:9] offset:1728
	;; [unrolled: 1-line block ×6, first 2 shown]
	global_load_dwordx4 v[44:47], v[48:49], off
	v_mad_u64_u32 v[52:53], s[6:7], s4, v84, v[48:49]
	v_add_u32_e32 v53, s5, v53
	global_load_dwordx4 v[48:51], v[52:53], off
	v_mad_u64_u32 v[56:57], s[6:7], s4, v84, v[52:53]
	v_add_u32_e32 v57, s5, v57
	;; [unrolled: 3-line block ×3, first 2 shown]
	s_movk_i32 s10, 0x1000
	global_load_dwordx4 v[56:59], v[62:63], off
	v_mad_u64_u32 v[64:65], s[6:7], s4, v84, v[62:63]
	v_add_co_u32_e32 v76, vcc, s10, v60
	v_add_u32_e32 v65, s5, v65
	s_nop 0
	v_addc_co_u32_e32 v77, vcc, 0, v61, vcc
	global_load_dwordx4 v[60:63], v[64:65], off
	v_mad_u64_u32 v[78:79], s[6:7], s4, v84, v[64:65]
	v_add_u32_e32 v79, s5, v79
	global_load_dwordx4 v[64:67], v[78:79], off
	global_load_dwordx4 v[68:71], v[76:77], off offset:512
	global_load_dwordx4 v[72:75], v[76:77], off offset:1088
	v_mad_u64_u32 v[76:77], s[6:7], s4, v84, v[78:79]
	v_add_u32_e32 v77, s5, v77
	global_load_dwordx4 v[76:79], v[76:77], off
	s_waitcnt vmcnt(18)
	v_mul_f64 v[84:85], v[2:3], v[6:7]
	v_mul_f64 v[6:7], v[0:1], v[6:7]
	v_fmac_f64_e32 v[84:85], v[0:1], v[4:5]
	v_fma_f64 v[86:87], v[2:3], v[4:5], -v[6:7]
	s_waitcnt vmcnt(16)
	v_mul_f64 v[2:3], v[16:17], v[10:11]
	v_mul_f64 v[0:1], v[18:19], v[10:11]
	v_fma_f64 v[2:3], v[18:19], v[8:9], -v[2:3]
	v_fmac_f64_e32 v[0:1], v[16:17], v[8:9]
	ds_write_b128 v83, v[84:87]
	ds_write_b128 v88, v[0:3] offset:576
	s_waitcnt vmcnt(14)
	v_mul_f64 v[2:3], v[12:13], v[22:23]
	v_mul_f64 v[0:1], v[14:15], v[22:23]
	v_fma_f64 v[2:3], v[14:15], v[20:21], -v[2:3]
	v_fmac_f64_e32 v[0:1], v[12:13], v[20:21]
	ds_write_b128 v88, v[0:3] offset:1152
	s_waitcnt vmcnt(8)
	v_mul_f64 v[2:3], v[44:45], v[26:27]
	v_mul_f64 v[0:1], v[46:47], v[26:27]
	v_fma_f64 v[2:3], v[46:47], v[24:25], -v[2:3]
	v_fmac_f64_e32 v[0:1], v[44:45], v[24:25]
	ds_write_b128 v88, v[0:3] offset:1728
	s_waitcnt vmcnt(7)
	v_mul_f64 v[0:1], v[50:51], v[30:31]
	v_mul_f64 v[2:3], v[48:49], v[30:31]
	v_fmac_f64_e32 v[0:1], v[48:49], v[28:29]
	v_fma_f64 v[2:3], v[50:51], v[28:29], -v[2:3]
	ds_write_b128 v88, v[0:3] offset:2304
	s_waitcnt vmcnt(6)
	v_mul_f64 v[0:1], v[54:55], v[34:35]
	v_mul_f64 v[2:3], v[52:53], v[34:35]
	v_fmac_f64_e32 v[0:1], v[52:53], v[32:33]
	v_fma_f64 v[2:3], v[54:55], v[32:33], -v[2:3]
	;; [unrolled: 6-line block ×6, first 2 shown]
	ds_write_b128 v88, v[0:3] offset:5184
.LBB0_3:
	s_or_b64 exec, exec, s[14:15]
	s_load_dwordx2 s[4:5], s[0:1], 0x20
	s_load_dwordx2 s[10:11], s[0:1], 0x8
	s_waitcnt lgkmcnt(0)
	s_barrier
	s_waitcnt lgkmcnt(0)
                                        ; implicit-def: $vgpr0_vgpr1
                                        ; implicit-def: $vgpr8_vgpr9
                                        ; implicit-def: $vgpr12_vgpr13
                                        ; implicit-def: $vgpr16_vgpr17
                                        ; implicit-def: $vgpr28_vgpr29
                                        ; implicit-def: $vgpr36_vgpr37
                                        ; implicit-def: $vgpr40_vgpr41
                                        ; implicit-def: $vgpr44_vgpr45
                                        ; implicit-def: $vgpr48_vgpr49
                                        ; implicit-def: $vgpr52_vgpr53
	s_and_saveexec_b64 s[0:1], s[2:3]
	s_cbranch_execz .LBB0_5
; %bb.4:
	v_lshl_add_u32 v4, v94, 4, v82
	ds_read_b128 v[0:3], v4
	ds_read_b128 v[8:11], v4 offset:576
	ds_read_b128 v[12:15], v4 offset:1152
	;; [unrolled: 1-line block ×9, first 2 shown]
.LBB0_5:
	s_or_b64 exec, exec, s[0:1]
	s_waitcnt lgkmcnt(3)
	v_add_f64 v[4:5], v[28:29], v[40:41]
	s_mov_b32 s0, 0x134454ff
	v_fma_f64 v[58:59], -0.5, v[4:5], v[0:1]
	s_waitcnt lgkmcnt(1)
	v_add_f64 v[4:5], v[14:15], -v[50:51]
	s_mov_b32 s1, 0x3fee6f0e
	s_mov_b32 s6, 0x4755a5e
	;; [unrolled: 1-line block ×4, first 2 shown]
	v_fma_f64 v[56:57], s[0:1], v[4:5], v[58:59]
	v_add_f64 v[6:7], v[30:31], -v[42:43]
	s_mov_b32 s7, 0x3fe2cf23
	v_add_f64 v[20:21], v[12:13], -v[28:29]
	v_add_f64 v[22:23], v[48:49], -v[40:41]
	s_mov_b32 s14, 0x372fe950
	v_fmac_f64_e32 v[58:59], s[16:17], v[4:5]
	s_mov_b32 s19, 0xbfe2cf23
	s_mov_b32 s18, s6
	v_fmac_f64_e32 v[56:57], s[6:7], v[6:7]
	v_add_f64 v[20:21], v[20:21], v[22:23]
	s_mov_b32 s15, 0x3fd3c6ef
	v_fmac_f64_e32 v[58:59], s[18:19], v[6:7]
	v_fmac_f64_e32 v[56:57], s[14:15], v[20:21]
	;; [unrolled: 1-line block ×3, first 2 shown]
	v_add_f64 v[20:21], v[12:13], v[48:49]
	v_fma_f64 v[62:63], -0.5, v[20:21], v[0:1]
	v_fma_f64 v[60:61], s[16:17], v[6:7], v[62:63]
	v_fmac_f64_e32 v[62:63], s[0:1], v[6:7]
	v_fmac_f64_e32 v[60:61], s[6:7], v[4:5]
	v_add_f64 v[20:21], v[28:29], -v[12:13]
	v_add_f64 v[22:23], v[40:41], -v[48:49]
	v_fmac_f64_e32 v[62:63], s[18:19], v[4:5]
	v_add_f64 v[4:5], v[30:31], v[42:43]
	v_add_f64 v[20:21], v[20:21], v[22:23]
	v_fma_f64 v[66:67], -0.5, v[4:5], v[2:3]
	v_add_f64 v[4:5], v[12:13], -v[48:49]
	v_fmac_f64_e32 v[60:61], s[14:15], v[20:21]
	v_fmac_f64_e32 v[62:63], s[14:15], v[20:21]
	v_fma_f64 v[64:65], s[16:17], v[4:5], v[66:67]
	v_add_f64 v[6:7], v[28:29], -v[40:41]
	v_add_f64 v[20:21], v[14:15], -v[30:31]
	;; [unrolled: 1-line block ×3, first 2 shown]
	v_fmac_f64_e32 v[66:67], s[0:1], v[4:5]
	v_fmac_f64_e32 v[64:65], s[18:19], v[6:7]
	v_add_f64 v[20:21], v[20:21], v[22:23]
	v_fmac_f64_e32 v[66:67], s[6:7], v[6:7]
	v_fmac_f64_e32 v[64:65], s[14:15], v[20:21]
	;; [unrolled: 1-line block ×3, first 2 shown]
	v_add_f64 v[20:21], v[14:15], v[50:51]
	v_fma_f64 v[70:71], -0.5, v[20:21], v[2:3]
	v_fma_f64 v[68:69], s[0:1], v[6:7], v[70:71]
	v_fmac_f64_e32 v[70:71], s[16:17], v[6:7]
	v_fmac_f64_e32 v[68:69], s[18:19], v[4:5]
	v_add_f64 v[20:21], v[30:31], -v[14:15]
	v_add_f64 v[22:23], v[42:43], -v[50:51]
	v_fmac_f64_e32 v[70:71], s[6:7], v[4:5]
	v_add_f64 v[4:5], v[36:37], v[44:45]
	v_add_f64 v[20:21], v[20:21], v[22:23]
	v_fma_f64 v[4:5], -0.5, v[4:5], v[8:9]
	s_waitcnt lgkmcnt(0)
	v_add_f64 v[6:7], v[18:19], -v[54:55]
	v_add_f64 v[22:23], v[16:17], -v[36:37]
	;; [unrolled: 1-line block ×3, first 2 shown]
	v_fmac_f64_e32 v[68:69], s[14:15], v[20:21]
	v_fmac_f64_e32 v[70:71], s[14:15], v[20:21]
	v_fma_f64 v[20:21], s[0:1], v[6:7], v[4:5]
	v_add_f64 v[22:23], v[22:23], v[24:25]
	v_add_f64 v[24:25], v[38:39], -v[46:47]
	v_fmac_f64_e32 v[4:5], s[16:17], v[6:7]
	v_fmac_f64_e32 v[20:21], s[6:7], v[24:25]
	;; [unrolled: 1-line block ×5, first 2 shown]
	v_add_f64 v[22:23], v[36:37], -v[16:17]
	v_add_f64 v[26:27], v[44:45], -v[52:53]
	v_add_f64 v[22:23], v[22:23], v[26:27]
	v_add_f64 v[26:27], v[16:17], v[52:53]
	v_fma_f64 v[26:27], -0.5, v[26:27], v[8:9]
	v_fma_f64 v[32:33], s[16:17], v[24:25], v[26:27]
	v_fmac_f64_e32 v[26:27], s[0:1], v[24:25]
	v_fmac_f64_e32 v[32:33], s[6:7], v[6:7]
	;; [unrolled: 1-line block ×5, first 2 shown]
	v_add_f64 v[6:7], v[18:19], -v[38:39]
	v_add_f64 v[22:23], v[54:55], -v[46:47]
	v_add_f64 v[6:7], v[6:7], v[22:23]
	v_add_f64 v[22:23], v[38:39], v[46:47]
	v_fma_f64 v[22:23], -0.5, v[22:23], v[10:11]
	v_add_f64 v[24:25], v[16:17], -v[52:53]
	v_fma_f64 v[34:35], s[16:17], v[24:25], v[22:23]
	v_add_f64 v[72:73], v[36:37], -v[44:45]
	v_fmac_f64_e32 v[22:23], s[0:1], v[24:25]
	v_fmac_f64_e32 v[34:35], s[18:19], v[72:73]
	;; [unrolled: 1-line block ×5, first 2 shown]
	v_add_f64 v[6:7], v[38:39], -v[18:19]
	v_add_f64 v[74:75], v[46:47], -v[54:55]
	v_add_f64 v[6:7], v[6:7], v[74:75]
	v_add_f64 v[74:75], v[18:19], v[54:55]
	v_fma_f64 v[84:85], -0.5, v[74:75], v[10:11]
	v_fma_f64 v[76:77], s[0:1], v[72:73], v[84:85]
	v_fmac_f64_e32 v[84:85], s[16:17], v[72:73]
	v_fmac_f64_e32 v[76:77], s[18:19], v[24:25]
	;; [unrolled: 1-line block ×5, first 2 shown]
	s_mov_b32 s20, 0x9b97f4a8
	v_mul_f64 v[86:87], v[32:33], s[16:17]
	v_mul_f64 v[6:7], v[26:27], s[14:15]
	s_mov_b32 s21, 0x3fe9e377
	v_mul_f64 v[74:75], v[76:77], s[0:1]
	v_fmac_f64_e32 v[86:87], s[14:15], v[76:77]
	v_fma_f64 v[76:77], v[84:85], s[0:1], -v[6:7]
	v_mul_f64 v[6:7], v[84:85], s[14:15]
	v_fma_f64 v[88:89], v[26:27], s[16:17], -v[6:7]
	v_mul_f64 v[6:7], v[4:5], s[20:21]
	v_mul_f64 v[72:73], v[20:21], s[20:21]
	;; [unrolled: 1-line block ×3, first 2 shown]
	v_fma_f64 v[84:85], v[22:23], s[6:7], -v[6:7]
	v_mul_f64 v[6:7], v[22:23], s[20:21]
	v_fmac_f64_e32 v[72:73], s[6:7], v[34:35]
	v_fmac_f64_e32 v[78:79], s[20:21], v[34:35]
	v_fmac_f64_e32 v[74:75], s[14:15], v[32:33]
	v_fma_f64 v[90:91], v[4:5], s[18:19], -v[6:7]
	v_add_f64 v[4:5], v[56:57], -v[72:73]
	v_add_f64 v[6:7], v[64:65], -v[78:79]
	;; [unrolled: 1-line block ×8, first 2 shown]
	v_mul_lo_u16_e32 v93, 10, v81
	s_barrier
	s_and_saveexec_b64 s[0:1], s[2:3]
	s_cbranch_execz .LBB0_7
; %bb.6:
	v_add_f64 v[2:3], v[2:3], v[14:15]
	v_add_f64 v[0:1], v[0:1], v[12:13]
	;; [unrolled: 1-line block ×16, first 2 shown]
	v_add_f64 v[0:1], v[40:41], -v[36:37]
	v_add_f64 v[38:39], v[42:43], v[12:13]
	v_add_f64 v[36:37], v[40:41], v[36:37]
	v_add_lshl_u32 v40, v94, v93, 4
	v_add_f64 v[2:3], v[42:43], -v[12:13]
	v_add_f64 v[10:11], v[66:67], v[90:91]
	v_add_f64 v[14:15], v[70:71], v[88:89]
	;; [unrolled: 1-line block ×8, first 2 shown]
	ds_write_b128 v40, v[36:39]
	ds_write_b128 v40, v[28:31] offset:16
	ds_write_b128 v40, v[16:19] offset:32
	;; [unrolled: 1-line block ×9, first 2 shown]
.LBB0_7:
	s_or_b64 exec, exec, s[0:1]
	s_movk_i32 s0, 0xcd
	v_mul_lo_u16_sdwa v0, v81, s0 dst_sel:DWORD dst_unused:UNUSED_PAD src0_sel:BYTE_0 src1_sel:DWORD
	v_lshrrev_b16_e32 v83, 11, v0
	v_mul_lo_u16_e32 v0, 10, v83
	v_sub_u16_e32 v0, v81, v0
	v_and_b32_e32 v86, 0xff, v0
	s_movk_i32 s14, 0x50
	v_mov_b64_e32 v[36:37], s[10:11]
	v_mad_u64_u32 v[38:39], s[0:1], v86, s14, v[36:37]
	s_load_dwordx4 s[4:7], s[4:5], 0x0
	s_waitcnt lgkmcnt(0)
	s_barrier
	global_load_dwordx4 v[16:19], v[38:39], off
	global_load_dwordx4 v[12:15], v[38:39], off offset:16
	global_load_dwordx4 v[8:11], v[38:39], off offset:32
	;; [unrolled: 1-line block ×4, first 2 shown]
	v_add_lshl_u32 v89, v94, v81, 4
	ds_read_b128 v[38:41], v89
	ds_read_b128 v[42:45], v89 offset:960
	ds_read_b128 v[46:49], v89 offset:1920
	;; [unrolled: 1-line block ×5, first 2 shown]
	s_mov_b32 s10, 0xe8584caa
	s_mov_b32 s11, 0x3febb67a
	;; [unrolled: 1-line block ×4, first 2 shown]
	s_waitcnt lgkmcnt(0)
	s_barrier
	v_lshl_add_u32 v88, v81, 4, v92
	s_waitcnt vmcnt(4)
	v_mul_f64 v[64:65], v[42:43], v[18:19]
	s_waitcnt vmcnt(3)
	v_mul_f64 v[68:69], v[46:47], v[14:15]
	;; [unrolled: 2-line block ×5, first 2 shown]
	v_mul_f64 v[62:63], v[44:45], v[18:19]
	v_mul_f64 v[66:67], v[48:49], v[14:15]
	;; [unrolled: 1-line block ×5, first 2 shown]
	v_fmac_f64_e32 v[64:65], v[44:45], v[16:17]
	v_fmac_f64_e32 v[68:69], v[48:49], v[12:13]
	;; [unrolled: 1-line block ×5, first 2 shown]
	v_fma_f64 v[62:63], v[42:43], v[16:17], -v[62:63]
	v_fma_f64 v[42:43], v[46:47], v[12:13], -v[66:67]
	v_fma_f64 v[44:45], v[50:51], v[8:9], -v[70:71]
	v_fma_f64 v[46:47], v[54:55], v[0:1], -v[74:75]
	v_fma_f64 v[48:49], v[58:59], v[28:29], -v[78:79]
	v_add_f64 v[54:55], v[68:69], -v[76:77]
	v_add_f64 v[56:57], v[40:41], v[68:69]
	v_add_f64 v[58:59], v[68:69], v[76:77]
	v_add_f64 v[68:69], v[72:73], -v[84:85]
	v_add_f64 v[70:71], v[64:65], v[72:73]
	v_add_f64 v[72:73], v[72:73], v[84:85]
	;; [unrolled: 1-line block ×5, first 2 shown]
	v_add_f64 v[44:45], v[44:45], -v[48:49]
	v_fmac_f64_e32 v[64:65], -0.5, v[72:73]
	v_add_f64 v[50:51], v[38:39], v[42:43]
	v_fmac_f64_e32 v[38:39], -0.5, v[52:53]
	v_fmac_f64_e32 v[62:63], -0.5, v[66:67]
	v_fma_f64 v[52:53], s[0:1], v[44:45], v[64:65]
	v_fmac_f64_e32 v[64:65], s[10:11], v[44:45]
	v_add_f64 v[42:43], v[42:43], -v[46:47]
	v_add_f64 v[46:47], v[50:51], v[46:47]
	v_fma_f64 v[50:51], s[10:11], v[68:69], v[62:63]
	v_fmac_f64_e32 v[62:63], s[0:1], v[68:69]
	v_mul_f64 v[72:73], v[64:65], -0.5
	v_fmac_f64_e32 v[40:41], -0.5, v[58:59]
	v_add_f64 v[48:49], v[60:61], v[48:49]
	v_mul_f64 v[68:69], v[62:63], -0.5
	v_fmac_f64_e32 v[72:73], s[0:1], v[62:63]
	v_mul_u32_u24_e32 v62, 60, v83
	v_add_f64 v[74:75], v[56:57], v[76:77]
	v_add_f64 v[60:61], v[70:71], v[84:85]
	v_fma_f64 v[66:67], s[0:1], v[42:43], v[40:41]
	v_fmac_f64_e32 v[40:41], s[10:11], v[42:43]
	v_add_f64 v[42:43], v[46:47], v[48:49]
	v_add_f64 v[46:47], v[46:47], -v[48:49]
	v_mul_f64 v[48:49], v[52:53], s[10:11]
	v_mul_f64 v[70:71], v[50:51], s[0:1]
	v_add_u32_e32 v62, v62, v86
	v_fma_f64 v[58:59], s[10:11], v[54:55], v[38:39]
	v_fmac_f64_e32 v[38:39], s[0:1], v[54:55]
	v_add_f64 v[44:45], v[74:75], v[60:61]
	v_fmac_f64_e32 v[48:49], 0.5, v[50:51]
	v_fmac_f64_e32 v[68:69], s[10:11], v[64:65]
	v_fmac_f64_e32 v[70:71], 0.5, v[52:53]
	v_add_f64 v[56:57], v[40:41], v[72:73]
	v_add_lshl_u32 v90, v94, v62, 4
	v_add_f64 v[50:51], v[58:59], v[48:49]
	v_add_f64 v[54:55], v[38:39], v[68:69]
	;; [unrolled: 1-line block ×3, first 2 shown]
	v_add_f64 v[58:59], v[58:59], -v[48:49]
	v_add_f64 v[38:39], v[38:39], -v[68:69]
	;; [unrolled: 1-line block ×5, first 2 shown]
	ds_write_b128 v90, v[42:45]
	ds_write_b128 v90, v[50:53] offset:160
	ds_write_b128 v90, v[54:57] offset:320
	;; [unrolled: 1-line block ×5, first 2 shown]
	v_mad_u64_u32 v[56:57], s[14:15], v81, s14, v[36:37]
	s_waitcnt lgkmcnt(0)
	s_barrier
	global_load_dwordx4 v[48:51], v[56:57], off offset:800
	global_load_dwordx4 v[44:47], v[56:57], off offset:816
	;; [unrolled: 1-line block ×5, first 2 shown]
	ds_read_b128 v[76:79], v89
	ds_read_b128 v[56:59], v89 offset:960
	ds_read_b128 v[60:63], v89 offset:1920
	;; [unrolled: 1-line block ×5, first 2 shown]
	s_waitcnt vmcnt(4) lgkmcnt(4)
	v_mul_f64 v[86:87], v[56:57], v[50:51]
	s_waitcnt vmcnt(3) lgkmcnt(3)
	v_mul_f64 v[96:97], v[60:61], v[46:47]
	;; [unrolled: 2-line block ×3, first 2 shown]
	v_mul_f64 v[84:85], v[58:59], v[50:51]
	s_waitcnt vmcnt(0) lgkmcnt(0)
	v_mul_f64 v[106:107], v[74:75], v[54:55]
	v_mul_f64 v[94:95], v[62:63], v[46:47]
	;; [unrolled: 1-line block ×5, first 2 shown]
	v_fmac_f64_e32 v[86:87], v[58:59], v[48:49]
	v_fmac_f64_e32 v[96:97], v[62:63], v[44:45]
	v_fma_f64 v[58:59], v[64:65], v[40:41], -v[98:99]
	v_fma_f64 v[62:63], v[72:73], v[52:53], -v[106:107]
	v_mul_f64 v[102:103], v[70:71], v[38:39]
	v_fma_f64 v[84:85], v[56:57], v[48:49], -v[84:85]
	v_fma_f64 v[56:57], v[60:61], v[44:45], -v[94:95]
	v_fmac_f64_e32 v[100:101], v[66:67], v[40:41]
	v_fmac_f64_e32 v[104:105], v[70:71], v[36:37]
	;; [unrolled: 1-line block ×3, first 2 shown]
	v_add_f64 v[94:95], v[58:59], v[62:63]
	v_fma_f64 v[60:61], v[68:69], v[36:37], -v[102:103]
	v_add_f64 v[64:65], v[76:77], v[56:57]
	v_add_f64 v[68:69], v[96:97], -v[104:105]
	v_add_f64 v[70:71], v[78:79], v[96:97]
	v_add_f64 v[72:73], v[96:97], v[104:105]
	;; [unrolled: 1-line block ×3, first 2 shown]
	v_add_f64 v[96:97], v[100:101], -v[108:109]
	v_add_f64 v[98:99], v[86:87], v[100:101]
	v_add_f64 v[100:101], v[100:101], v[108:109]
	v_fmac_f64_e32 v[84:85], -0.5, v[94:95]
	v_add_f64 v[66:67], v[56:57], v[60:61]
	v_add_f64 v[56:57], v[56:57], -v[60:61]
	v_add_f64 v[58:59], v[58:59], -v[62:63]
	v_add_f64 v[102:103], v[64:65], v[60:61]
	v_fmac_f64_e32 v[86:87], -0.5, v[100:101]
	v_fma_f64 v[60:61], s[10:11], v[96:97], v[84:85]
	v_fmac_f64_e32 v[84:85], s[0:1], v[96:97]
	v_fmac_f64_e32 v[78:79], -0.5, v[72:73]
	v_add_f64 v[72:73], v[74:75], v[62:63]
	v_fma_f64 v[62:63], s[0:1], v[58:59], v[86:87]
	v_fmac_f64_e32 v[86:87], s[10:11], v[58:59]
	v_mul_f64 v[100:101], v[84:85], -0.5
	v_fmac_f64_e32 v[76:77], -0.5, v[66:67]
	v_add_f64 v[70:71], v[70:71], v[104:105]
	v_mul_f64 v[96:97], v[62:63], s[10:11]
	v_mul_f64 v[104:105], v[60:61], s[0:1]
	v_fmac_f64_e32 v[100:101], s[10:11], v[86:87]
	v_mul_f64 v[86:87], v[86:87], -0.5
	v_add_f64 v[74:75], v[98:99], v[108:109]
	v_fma_f64 v[94:95], s[10:11], v[68:69], v[76:77]
	v_fmac_f64_e32 v[76:77], s[0:1], v[68:69]
	v_fma_f64 v[98:99], s[0:1], v[56:57], v[78:79]
	v_fmac_f64_e32 v[78:79], s[10:11], v[56:57]
	v_fmac_f64_e32 v[96:97], 0.5, v[60:61]
	v_fmac_f64_e32 v[104:105], 0.5, v[62:63]
	v_fmac_f64_e32 v[86:87], s[0:1], v[84:85]
	v_add_f64 v[56:57], v[102:103], v[72:73]
	v_add_f64 v[58:59], v[70:71], v[74:75]
	;; [unrolled: 1-line block ×6, first 2 shown]
	v_add_f64 v[68:69], v[102:103], -v[72:73]
	v_add_f64 v[72:73], v[94:95], -v[96:97]
	;; [unrolled: 1-line block ×6, first 2 shown]
	ds_write_b128 v88, v[56:59]
	ds_write_b128 v88, v[60:63] offset:960
	ds_write_b128 v88, v[64:67] offset:1920
	;; [unrolled: 1-line block ×5, first 2 shown]
	s_waitcnt lgkmcnt(0)
	s_barrier
	s_and_saveexec_b64 s[0:1], s[2:3]
	s_cbranch_execz .LBB0_9
; %bb.8:
	v_mov_b32_e32 v83, 0
	v_lshl_add_u64 v[84:85], s[8:9], 0, v[82:83]
	v_add_co_u32_e32 v98, vcc, 0x1000, v84
	ds_read_b128 v[94:97], v88
	s_nop 0
	v_addc_co_u32_e32 v99, vcc, 0, v85, vcc
	global_load_dwordx4 v[98:101], v[98:99], off offset:1664
	s_mov_b64 s[10:11], 0x1680
	v_lshl_add_u64 v[86:87], v[84:85], 0, s[10:11]
	s_movk_i32 s10, 0x2000
	s_waitcnt vmcnt(0) lgkmcnt(0)
	v_mul_f64 v[102:103], v[96:97], v[100:101]
	v_mul_f64 v[104:105], v[94:95], v[100:101]
	v_fma_f64 v[102:103], v[94:95], v[98:99], -v[102:103]
	v_fmac_f64_e32 v[104:105], v[96:97], v[98:99]
	global_load_dwordx4 v[98:101], v[86:87], off offset:576
	ds_read_b128 v[94:97], v88 offset:576
	ds_write_b128 v88, v[102:105]
	s_waitcnt vmcnt(0) lgkmcnt(1)
	v_mul_f64 v[102:103], v[96:97], v[100:101]
	v_mul_f64 v[104:105], v[94:95], v[100:101]
	v_fma_f64 v[102:103], v[94:95], v[98:99], -v[102:103]
	v_fmac_f64_e32 v[104:105], v[96:97], v[98:99]
	global_load_dwordx4 v[98:101], v[86:87], off offset:1152
	ds_read_b128 v[94:97], v88 offset:1152
	ds_write_b128 v88, v[102:105] offset:576
	s_waitcnt vmcnt(0) lgkmcnt(1)
	v_mul_f64 v[102:103], v[96:97], v[100:101]
	v_mul_f64 v[104:105], v[94:95], v[100:101]
	v_fma_f64 v[102:103], v[94:95], v[98:99], -v[102:103]
	v_fmac_f64_e32 v[104:105], v[96:97], v[98:99]
	global_load_dwordx4 v[98:101], v[86:87], off offset:1728
	ds_read_b128 v[94:97], v88 offset:1728
	ds_write_b128 v88, v[102:105] offset:1152
	;; [unrolled: 8-line block ×6, first 2 shown]
	s_waitcnt vmcnt(0) lgkmcnt(1)
	v_mul_f64 v[86:87], v[96:97], v[100:101]
	v_mul_f64 v[104:105], v[94:95], v[100:101]
	v_fma_f64 v[102:103], v[94:95], v[98:99], -v[86:87]
	v_fmac_f64_e32 v[104:105], v[96:97], v[98:99]
	ds_write_b128 v88, v[102:105] offset:4032
	v_add_co_u32_e32 v102, vcc, s10, v84
	ds_read_b128 v[94:97], v88 offset:4608
	s_nop 0
	v_addc_co_u32_e32 v103, vcc, 0, v85, vcc
	global_load_dwordx4 v[84:87], v[102:103], off offset:2176
	s_waitcnt vmcnt(0) lgkmcnt(0)
	v_mul_f64 v[98:99], v[96:97], v[86:87]
	v_mul_f64 v[100:101], v[94:95], v[86:87]
	v_fma_f64 v[98:99], v[94:95], v[84:85], -v[98:99]
	v_fmac_f64_e32 v[100:101], v[96:97], v[84:85]
	global_load_dwordx4 v[94:97], v[102:103], off offset:2752
	ds_read_b128 v[84:87], v88 offset:5184
	ds_write_b128 v88, v[98:101] offset:4608
	s_waitcnt vmcnt(0) lgkmcnt(1)
	v_mul_f64 v[98:99], v[86:87], v[96:97]
	v_mul_f64 v[100:101], v[84:85], v[96:97]
	v_fma_f64 v[98:99], v[84:85], v[94:95], -v[98:99]
	v_fmac_f64_e32 v[100:101], v[86:87], v[94:95]
	ds_write_b128 v88, v[98:101] offset:5184
.LBB0_9:
	s_or_b64 exec, exec, s[0:1]
	s_waitcnt lgkmcnt(0)
	s_barrier
	s_and_saveexec_b64 s[0:1], s[2:3]
	s_cbranch_execz .LBB0_11
; %bb.10:
	ds_read_b128 v[56:59], v88
	ds_read_b128 v[60:63], v88 offset:576
	ds_read_b128 v[64:67], v88 offset:1152
	;; [unrolled: 1-line block ×9, first 2 shown]
.LBB0_11:
	s_or_b64 exec, exec, s[0:1]
	s_waitcnt lgkmcnt(0)
	s_barrier
	s_and_saveexec_b64 s[0:1], s[2:3]
	s_cbranch_execz .LBB0_13
; %bb.12:
	v_add_f64 v[84:85], v[66:67], -v[74:75]
	v_add_f64 v[86:87], v[26:27], -v[6:7]
	v_add_f64 v[84:85], v[84:85], v[86:87]
	v_add_f64 v[86:87], v[74:75], v[6:7]
	v_fma_f64 v[106:107], -0.5, v[86:87], v[58:59]
	v_add_f64 v[86:87], v[68:69], -v[76:77]
	v_add_f64 v[96:97], v[32:33], -v[20:21]
	v_add_f64 v[102:103], v[86:87], v[96:97]
	v_add_f64 v[86:87], v[76:77], v[20:21]
	v_fma_f64 v[110:111], -0.5, v[86:87], v[60:61]
	v_add_f64 v[86:87], v[70:71], -v[78:79]
	v_add_f64 v[96:97], v[34:35], -v[22:23]
	v_add_f64 v[116:117], v[86:87], v[96:97]
	v_add_f64 v[96:97], v[74:75], -v[66:67]
	v_add_f64 v[100:101], v[6:7], -v[26:27]
	s_mov_b32 s10, 0x134454ff
	v_add_f64 v[86:87], v[78:79], v[22:23]
	v_add_f64 v[100:101], v[96:97], v[100:101]
	;; [unrolled: 1-line block ×3, first 2 shown]
	s_mov_b32 s11, 0xbfee6f0e
	s_mov_b32 s14, 0x4755a5e
	;; [unrolled: 1-line block ×4, first 2 shown]
	v_fma_f64 v[118:119], -0.5, v[86:87], v[62:63]
	v_add_f64 v[120:121], v[68:69], -v[32:33]
	v_fma_f64 v[128:129], -0.5, v[96:97], v[58:59]
	v_add_f64 v[58:59], v[58:59], v[66:67]
	s_mov_b32 s15, 0xbfe2cf23
	s_mov_b32 s16, 0x372fe950
	;; [unrolled: 1-line block ×4, first 2 shown]
	v_fma_f64 v[122:123], s[10:11], v[120:121], v[118:119]
	v_add_f64 v[124:125], v[76:77], -v[20:21]
	v_fmac_f64_e32 v[118:119], s[18:19], v[120:121]
	v_add_f64 v[58:59], v[58:59], v[74:75]
	s_mov_b32 s17, 0x3fd3c6ef
	v_fmac_f64_e32 v[122:123], s[14:15], v[124:125]
	v_add_f64 v[96:97], v[76:77], -v[68:69]
	v_add_f64 v[132:133], v[20:21], -v[32:33]
	v_fmac_f64_e32 v[118:119], s[20:21], v[124:125]
	v_add_f64 v[58:59], v[58:59], v[6:7]
	v_fmac_f64_e32 v[122:123], s[16:17], v[116:117]
	v_add_f64 v[132:133], v[96:97], v[132:133]
	v_add_f64 v[96:97], v[68:69], v[32:33]
	v_fmac_f64_e32 v[118:119], s[16:17], v[116:117]
	v_add_f64 v[116:117], v[58:59], v[26:27]
	v_add_f64 v[58:59], v[62:63], v[70:71]
	v_fma_f64 v[134:135], -0.5, v[96:97], v[60:61]
	v_add_f64 v[96:97], v[78:79], -v[70:71]
	v_add_f64 v[138:139], v[22:23], -v[34:35]
	v_add_f64 v[58:59], v[58:59], v[78:79]
	v_add_f64 v[114:115], v[78:79], -v[22:23]
	v_add_f64 v[138:139], v[96:97], v[138:139]
	v_add_f64 v[96:97], v[70:71], v[34:35]
	;; [unrolled: 1-line block ×3, first 2 shown]
	v_add_f64 v[104:105], v[70:71], -v[34:35]
	v_fma_f64 v[140:141], -0.5, v[96:97], v[62:63]
	v_add_f64 v[62:63], v[22:23], v[34:35]
	v_add_f64 v[34:35], v[64:65], -v[72:73]
	v_add_f64 v[58:59], v[24:25], -v[4:5]
	v_add_f64 v[34:35], v[34:35], v[58:59]
	v_add_f64 v[58:59], v[72:73], v[4:5]
	v_fma_f64 v[112:113], s[18:19], v[104:105], v[110:111]
	s_mov_b32 s22, 0x9b97f4a8
	v_fma_f64 v[70:71], -0.5, v[58:59], v[56:57]
	v_add_f64 v[58:59], v[72:73], -v[64:65]
	v_add_f64 v[78:79], v[4:5], -v[24:25]
	v_fmac_f64_e32 v[112:113], s[20:21], v[114:115]
	s_mov_b32 s23, 0xbfe9e377
	v_add_f64 v[26:27], v[66:67], -v[26:27]
	v_add_f64 v[58:59], v[58:59], v[78:79]
	v_add_f64 v[78:79], v[64:65], v[24:25]
	v_fmac_f64_e32 v[112:113], s[16:17], v[102:103]
	v_mul_f64 v[126:127], v[122:123], s[22:23]
	v_fma_f64 v[66:67], s[18:19], v[26:27], v[70:71]
	v_add_f64 v[6:7], v[74:75], -v[6:7]
	v_mul_f64 v[74:75], v[122:123], s[14:15]
	v_fma_f64 v[78:79], -0.5, v[78:79], v[56:57]
	v_fmac_f64_e32 v[70:71], s[10:11], v[26:27]
	v_fmac_f64_e32 v[126:127], s[20:21], v[112:113]
	;; [unrolled: 1-line block ×4, first 2 shown]
	v_fma_f64 v[112:113], s[10:11], v[6:7], v[78:79]
	v_fmac_f64_e32 v[78:79], s[18:19], v[6:7]
	v_fmac_f64_e32 v[70:71], s[14:15], v[6:7]
	v_add_f64 v[6:7], v[56:57], v[64:65]
	v_add_f64 v[6:7], v[6:7], v[72:73]
	v_add_f64 v[98:99], v[72:73], -v[4:5]
	v_fmac_f64_e32 v[110:111], s[10:11], v[104:105]
	v_add_f64 v[4:5], v[6:7], v[4:5]
	v_add_f64 v[94:95], v[64:65], -v[24:25]
	v_fma_f64 v[142:143], s[18:19], v[124:125], v[140:141]
	v_fmac_f64_e32 v[140:141], s[10:11], v[124:125]
	v_fmac_f64_e32 v[110:111], s[14:15], v[114:115]
	v_add_f64 v[64:65], v[4:5], v[24:25]
	v_add_f64 v[4:5], v[60:61], v[68:69]
	v_fma_f64 v[136:137], s[10:11], v[114:115], v[134:135]
	v_fmac_f64_e32 v[142:143], s[14:15], v[120:121]
	v_fmac_f64_e32 v[134:135], s[18:19], v[114:115]
	;; [unrolled: 1-line block ×4, first 2 shown]
	v_add_f64 v[4:5], v[4:5], v[76:77]
	v_fma_f64 v[108:109], s[10:11], v[94:95], v[106:107]
	v_fma_f64 v[130:131], s[18:19], v[98:99], v[128:129]
	v_fmac_f64_e32 v[136:137], s[20:21], v[104:105]
	v_fmac_f64_e32 v[142:143], s[16:17], v[138:139]
	s_mov_b32 s25, 0xbfd3c6ef
	s_mov_b32 s24, s16
	v_fmac_f64_e32 v[128:129], s[10:11], v[98:99]
	v_fmac_f64_e32 v[134:135], s[14:15], v[104:105]
	v_fmac_f64_e32 v[140:141], s[16:17], v[138:139]
	v_fmac_f64_e32 v[106:107], s[18:19], v[94:95]
	v_mul_f64 v[114:115], v[110:111], s[20:21]
	s_mov_b32 s27, 0x3fe9e377
	s_mov_b32 s26, s22
	v_add_f64 v[4:5], v[4:5], v[20:21]
	v_fmac_f64_e32 v[108:109], s[14:15], v[98:99]
	v_fmac_f64_e32 v[130:131], s[14:15], v[94:95]
	;; [unrolled: 1-line block ×3, first 2 shown]
	v_mul_f64 v[144:145], v[142:143], s[24:25]
	v_fmac_f64_e32 v[128:129], s[20:21], v[94:95]
	v_fmac_f64_e32 v[134:135], s[16:17], v[132:133]
	v_mul_f64 v[132:133], v[140:141], s[16:17]
	v_fmac_f64_e32 v[106:107], s[20:21], v[98:99]
	v_fmac_f64_e32 v[114:115], s[26:27], v[118:119]
	;; [unrolled: 1-line block ×3, first 2 shown]
	v_mul_f64 v[120:121], v[142:143], s[10:11]
	v_fmac_f64_e32 v[78:79], s[14:15], v[26:27]
	v_mul_f64 v[122:123], v[140:141], s[10:11]
	v_mul_f64 v[118:119], v[118:119], s[14:15]
	v_add_f64 v[60:61], v[4:5], v[32:33]
	v_fmac_f64_e32 v[108:109], s[16:17], v[84:85]
	v_fmac_f64_e32 v[130:131], s[16:17], v[100:101]
	;; [unrolled: 1-line block ×6, first 2 shown]
	v_add_f64 v[22:23], v[116:117], -v[62:63]
	v_fmac_f64_e32 v[66:67], s[16:17], v[34:35]
	v_fmac_f64_e32 v[112:113], s[16:17], v[58:59]
	;; [unrolled: 1-line block ×7, first 2 shown]
	v_add_f64 v[20:21], v[64:65], -v[60:61]
	v_add_f64 v[62:63], v[116:117], v[62:63]
	v_add_f64 v[60:61], v[64:65], v[60:61]
	v_lshl_add_u32 v64, v93, 4, v92
	v_add_f64 v[86:87], v[108:109], -v[126:127]
	v_add_f64 v[96:97], v[130:131], -v[144:145]
	;; [unrolled: 1-line block ×8, first 2 shown]
	v_add_f64 v[6:7], v[108:109], v[126:127]
	v_add_f64 v[26:27], v[130:131], v[144:145]
	;; [unrolled: 1-line block ×8, first 2 shown]
	ds_write_b128 v64, v[60:63]
	ds_write_b128 v64, v[56:59] offset:16
	ds_write_b128 v64, v[32:35] offset:32
	ds_write_b128 v64, v[24:27] offset:48
	ds_write_b128 v64, v[4:7] offset:64
	ds_write_b128 v64, v[20:23] offset:80
	ds_write_b128 v64, v[102:105] offset:96
	ds_write_b128 v64, v[98:101] offset:112
	ds_write_b128 v64, v[94:97] offset:128
	ds_write_b128 v64, v[84:87] offset:144
.LBB0_13:
	s_or_b64 exec, exec, s[0:1]
	s_waitcnt lgkmcnt(0)
	s_barrier
	ds_read_b128 v[4:7], v89
	ds_read_b128 v[20:23], v89 offset:960
	ds_read_b128 v[24:27], v89 offset:1920
	;; [unrolled: 1-line block ×5, first 2 shown]
	s_waitcnt lgkmcnt(4)
	v_mul_f64 v[64:65], v[18:19], v[22:23]
	v_mul_f64 v[18:19], v[18:19], v[20:21]
	v_fmac_f64_e32 v[64:65], v[16:17], v[20:21]
	v_fma_f64 v[16:17], v[16:17], v[22:23], -v[18:19]
	s_waitcnt lgkmcnt(3)
	v_mul_f64 v[18:19], v[14:15], v[26:27]
	v_mul_f64 v[14:15], v[14:15], v[24:25]
	v_fmac_f64_e32 v[18:19], v[12:13], v[24:25]
	v_fma_f64 v[12:13], v[12:13], v[26:27], -v[14:15]
	;; [unrolled: 5-line block ×3, first 2 shown]
	s_waitcnt lgkmcnt(1)
	v_mul_f64 v[10:11], v[2:3], v[58:59]
	v_fmac_f64_e32 v[10:11], v[0:1], v[56:57]
	v_mul_f64 v[2:3], v[2:3], v[56:57]
	v_fma_f64 v[0:1], v[0:1], v[58:59], -v[2:3]
	v_add_f64 v[24:25], v[18:19], v[10:11]
	s_mov_b32 s10, 0xe8584caa
	v_add_f64 v[22:23], v[4:5], v[18:19]
	v_fmac_f64_e32 v[4:5], -0.5, v[24:25]
	v_add_f64 v[24:25], v[12:13], -v[0:1]
	s_mov_b32 s11, 0xbfebb67a
	s_mov_b32 s1, 0x3febb67a
	;; [unrolled: 1-line block ×3, first 2 shown]
	v_fma_f64 v[26:27], s[10:11], v[24:25], v[4:5]
	v_fmac_f64_e32 v[4:5], s[0:1], v[24:25]
	v_add_f64 v[24:25], v[6:7], v[12:13]
	v_add_f64 v[24:25], v[24:25], v[0:1]
	;; [unrolled: 1-line block ×3, first 2 shown]
	s_waitcnt lgkmcnt(0)
	v_mul_f64 v[2:3], v[30:31], v[62:63]
	v_mul_f64 v[20:21], v[30:31], v[60:61]
	v_fmac_f64_e32 v[6:7], -0.5, v[0:1]
	v_add_f64 v[0:1], v[18:19], -v[10:11]
	v_fmac_f64_e32 v[2:3], v[28:29], v[60:61]
	v_fma_f64 v[20:21], v[28:29], v[62:63], -v[20:21]
	v_fma_f64 v[28:29], s[0:1], v[0:1], v[6:7]
	v_fmac_f64_e32 v[6:7], s[10:11], v[0:1]
	v_add_f64 v[0:1], v[64:65], v[14:15]
	v_add_f64 v[18:19], v[0:1], v[2:3]
	;; [unrolled: 1-line block ×3, first 2 shown]
	v_fmac_f64_e32 v[64:65], -0.5, v[0:1]
	v_add_f64 v[0:1], v[8:9], -v[20:21]
	v_add_f64 v[22:23], v[22:23], v[10:11]
	v_fma_f64 v[10:11], s[10:11], v[0:1], v[64:65]
	v_fmac_f64_e32 v[64:65], s[0:1], v[0:1]
	v_add_f64 v[0:1], v[16:17], v[8:9]
	v_add_f64 v[30:31], v[0:1], v[20:21]
	;; [unrolled: 1-line block ×3, first 2 shown]
	v_fmac_f64_e32 v[16:17], -0.5, v[0:1]
	v_add_f64 v[0:1], v[14:15], -v[2:3]
	v_fma_f64 v[14:15], s[0:1], v[0:1], v[16:17]
	v_fmac_f64_e32 v[16:17], s[10:11], v[0:1]
	v_mul_f64 v[20:21], v[14:15], s[10:11]
	v_mul_f64 v[32:33], v[16:17], s[10:11]
	v_mul_f64 v[34:35], v[14:15], 0.5
	v_mul_f64 v[56:57], v[16:17], -0.5
	v_fmac_f64_e32 v[20:21], 0.5, v[10:11]
	v_fmac_f64_e32 v[32:33], -0.5, v[64:65]
	v_fmac_f64_e32 v[34:35], s[0:1], v[10:11]
	v_fmac_f64_e32 v[56:57], s[0:1], v[64:65]
	v_add_f64 v[0:1], v[22:23], v[18:19]
	v_add_f64 v[8:9], v[26:27], v[20:21]
	;; [unrolled: 1-line block ×6, first 2 shown]
	v_add_f64 v[16:17], v[22:23], -v[18:19]
	v_add_f64 v[20:21], v[26:27], -v[20:21]
	;; [unrolled: 1-line block ×6, first 2 shown]
	s_barrier
	ds_write_b128 v90, v[0:3]
	ds_write_b128 v90, v[8:11] offset:160
	ds_write_b128 v90, v[12:15] offset:320
	;; [unrolled: 1-line block ×5, first 2 shown]
	s_waitcnt lgkmcnt(0)
	s_barrier
	ds_read_b128 v[0:3], v89
	ds_read_b128 v[4:7], v89 offset:960
	ds_read_b128 v[8:11], v89 offset:1920
	;; [unrolled: 1-line block ×5, first 2 shown]
	s_waitcnt lgkmcnt(4)
	v_mul_f64 v[24:25], v[50:51], v[6:7]
	v_fmac_f64_e32 v[24:25], v[48:49], v[4:5]
	v_mul_f64 v[4:5], v[50:51], v[4:5]
	v_fma_f64 v[26:27], v[48:49], v[6:7], -v[4:5]
	s_waitcnt lgkmcnt(3)
	v_mul_f64 v[4:5], v[46:47], v[10:11]
	v_mul_f64 v[6:7], v[46:47], v[8:9]
	v_fmac_f64_e32 v[4:5], v[44:45], v[8:9]
	v_fma_f64 v[6:7], v[44:45], v[10:11], -v[6:7]
	s_waitcnt lgkmcnt(2)
	v_mul_f64 v[8:9], v[42:43], v[14:15]
	v_mul_f64 v[10:11], v[42:43], v[12:13]
	v_fmac_f64_e32 v[8:9], v[40:41], v[12:13]
	;; [unrolled: 5-line block ×3, first 2 shown]
	v_fma_f64 v[14:15], v[36:37], v[18:19], -v[14:15]
	s_waitcnt lgkmcnt(0)
	v_mul_f64 v[18:19], v[54:55], v[20:21]
	v_mul_f64 v[16:17], v[54:55], v[22:23]
	v_fma_f64 v[18:19], v[52:53], v[22:23], -v[18:19]
	v_add_f64 v[22:23], v[4:5], v[12:13]
	v_fmac_f64_e32 v[16:17], v[52:53], v[20:21]
	v_add_f64 v[20:21], v[0:1], v[4:5]
	v_fmac_f64_e32 v[0:1], -0.5, v[22:23]
	v_add_f64 v[22:23], v[6:7], -v[14:15]
	v_fma_f64 v[28:29], s[10:11], v[22:23], v[0:1]
	v_fmac_f64_e32 v[0:1], s[0:1], v[22:23]
	v_add_f64 v[22:23], v[2:3], v[6:7]
	v_add_f64 v[6:7], v[6:7], v[14:15]
	v_fmac_f64_e32 v[2:3], -0.5, v[6:7]
	v_add_f64 v[4:5], v[4:5], -v[12:13]
	v_fma_f64 v[30:31], s[0:1], v[4:5], v[2:3]
	v_fmac_f64_e32 v[2:3], s[10:11], v[4:5]
	v_add_f64 v[4:5], v[24:25], v[8:9]
	v_add_f64 v[32:33], v[4:5], v[16:17]
	;; [unrolled: 1-line block ×3, first 2 shown]
	v_fmac_f64_e32 v[24:25], -0.5, v[4:5]
	v_add_f64 v[4:5], v[10:11], -v[18:19]
	v_add_f64 v[22:23], v[22:23], v[14:15]
	v_fma_f64 v[14:15], s[10:11], v[4:5], v[24:25]
	v_fmac_f64_e32 v[24:25], s[0:1], v[4:5]
	v_add_f64 v[4:5], v[26:27], v[10:11]
	v_add_f64 v[34:35], v[4:5], v[18:19]
	;; [unrolled: 1-line block ×3, first 2 shown]
	v_fmac_f64_e32 v[26:27], -0.5, v[4:5]
	v_add_f64 v[4:5], v[8:9], -v[16:17]
	v_fma_f64 v[10:11], s[0:1], v[4:5], v[26:27]
	v_fmac_f64_e32 v[26:27], s[10:11], v[4:5]
	v_add_f64 v[20:21], v[20:21], v[12:13]
	v_mul_f64 v[18:19], v[10:11], s[10:11]
	v_mul_f64 v[36:37], v[26:27], s[10:11]
	v_mul_f64 v[38:39], v[10:11], 0.5
	v_mul_f64 v[26:27], v[26:27], -0.5
	v_add_f64 v[4:5], v[20:21], v[32:33]
	v_fmac_f64_e32 v[18:19], 0.5, v[14:15]
	v_fmac_f64_e32 v[36:37], -0.5, v[24:25]
	v_add_f64 v[6:7], v[22:23], v[34:35]
	v_fmac_f64_e32 v[38:39], s[0:1], v[14:15]
	v_fmac_f64_e32 v[26:27], s[0:1], v[24:25]
	v_add_f64 v[8:9], v[28:29], v[18:19]
	v_add_f64 v[12:13], v[0:1], v[36:37]
	;; [unrolled: 1-line block ×4, first 2 shown]
	v_add_f64 v[16:17], v[20:21], -v[32:33]
	v_add_f64 v[20:21], v[28:29], -v[18:19]
	;; [unrolled: 1-line block ×6, first 2 shown]
	ds_write_b128 v88, v[4:7]
	ds_write_b128 v88, v[8:11] offset:960
	ds_write_b128 v88, v[12:15] offset:1920
	;; [unrolled: 1-line block ×5, first 2 shown]
	s_waitcnt lgkmcnt(0)
	s_barrier
	s_and_b64 exec, exec, s[2:3]
	s_cbranch_execz .LBB0_15
; %bb.14:
	global_load_dwordx4 v[0:3], v82, s[8:9]
	global_load_dwordx4 v[4:7], v82, s[8:9] offset:576
	global_load_dwordx4 v[8:11], v82, s[8:9] offset:1152
	;; [unrolled: 1-line block ×5, first 2 shown]
	ds_read_b128 v[24:27], v88
	ds_read_b128 v[28:31], v88 offset:576
	ds_read_b128 v[32:35], v88 offset:1152
	;; [unrolled: 1-line block ×3, first 2 shown]
	global_load_dwordx4 v[40:43], v82, s[8:9] offset:3456
	ds_read_b128 v[44:47], v88 offset:2304
	ds_read_b128 v[48:51], v88 offset:2880
	global_load_dwordx4 v[52:55], v82, s[8:9] offset:4032
	v_mov_b32_e32 v83, 0
	v_mad_u64_u32 v[68:69], s[2:3], s4, v81, 0
	v_mad_u64_u32 v[66:67], s[0:1], s6, v80, 0
	s_movk_i32 s3, 0x1000
	v_lshl_add_u64 v[58:59], s[8:9], 0, v[82:83]
	v_mov_b32_e32 v56, v67
	v_mov_b32_e32 v60, v69
	v_add_co_u32_e32 v70, vcc, s3, v58
	v_mad_u64_u32 v[56:57], s[6:7], s7, v80, v[56:57]
	v_mad_u64_u32 v[60:61], s[6:7], s5, v81, v[60:61]
	v_addc_co_u32_e32 v71, vcc, 0, v59, vcc
	v_mov_b32_e32 v67, v56
	v_mov_b32_e32 v69, v60
	global_load_dwordx4 v[56:59], v[70:71], off offset:512
	global_load_dwordx4 v[60:63], v[70:71], off offset:1088
	v_mov_b32_e32 v64, s12
	v_mov_b32_e32 v65, s13
	v_lshl_add_u64 v[64:65], v[66:67], 4, v[64:65]
	v_mov_b32_e32 v84, 0x240
	v_lshl_add_u64 v[64:65], v[68:69], 4, v[64:65]
	s_mul_i32 s2, s5, 0x240
	v_mad_u64_u32 v[66:67], s[6:7], s4, v84, v[64:65]
	v_add_u32_e32 v67, s2, v67
	v_mad_u64_u32 v[68:69], s[6:7], s4, v84, v[66:67]
	s_mov_b32 s0, 0x16c16c17
	v_add_u32_e32 v69, s2, v69
	s_mov_b32 s1, 0x3f66c16c
	v_mad_u64_u32 v[70:71], s[6:7], s4, v84, v[68:69]
	v_add_u32_e32 v71, s2, v71
	s_waitcnt vmcnt(9) lgkmcnt(5)
	v_mul_f64 v[72:73], v[26:27], v[2:3]
	v_mul_f64 v[2:3], v[24:25], v[2:3]
	s_waitcnt vmcnt(7) lgkmcnt(3)
	v_mul_f64 v[76:77], v[34:35], v[10:11]
	v_mul_f64 v[74:75], v[30:31], v[6:7]
	;; [unrolled: 1-line block ×4, first 2 shown]
	s_waitcnt vmcnt(6) lgkmcnt(2)
	v_mul_f64 v[78:79], v[38:39], v[14:15]
	v_mul_f64 v[14:15], v[36:37], v[14:15]
	v_fmac_f64_e32 v[72:73], v[24:25], v[0:1]
	v_fma_f64 v[2:3], v[0:1], v[26:27], -v[2:3]
	v_fmac_f64_e32 v[76:77], v[32:33], v[8:9]
	s_waitcnt vmcnt(5) lgkmcnt(1)
	v_mul_f64 v[80:81], v[46:47], v[18:19]
	v_mul_f64 v[18:19], v[44:45], v[18:19]
	v_fmac_f64_e32 v[74:75], v[28:29], v[4:5]
	v_fma_f64 v[6:7], v[4:5], v[30:31], -v[6:7]
	v_fma_f64 v[10:11], v[8:9], v[34:35], -v[10:11]
	v_fmac_f64_e32 v[78:79], v[36:37], v[12:13]
	v_fma_f64 v[14:15], v[12:13], v[38:39], -v[14:15]
	v_mul_f64 v[0:1], v[72:73], s[0:1]
	v_mul_f64 v[2:3], v[2:3], s[0:1]
	;; [unrolled: 1-line block ×8, first 2 shown]
	global_store_dwordx4 v[64:65], v[0:3], off
	global_store_dwordx4 v[66:67], v[4:7], off
	global_store_dwordx4 v[68:69], v[8:11], off
	global_store_dwordx4 v[70:71], v[12:15], off
	v_fma_f64 v[0:1], v[16:17], v[46:47], -v[18:19]
	v_mad_u64_u32 v[8:9], s[6:7], s4, v84, v[70:71]
	v_mul_f64 v[26:27], v[0:1], s[0:1]
	v_add_u32_e32 v9, s2, v9
	s_waitcnt vmcnt(8) lgkmcnt(0)
	v_mul_f64 v[0:1], v[50:51], v[22:23]
	v_mul_f64 v[2:3], v[48:49], v[22:23]
	ds_read_b128 v[4:7], v88 offset:3456
	v_fmac_f64_e32 v[80:81], v[44:45], v[16:17]
	v_fmac_f64_e32 v[0:1], v[48:49], v[20:21]
	v_fma_f64 v[2:3], v[20:21], v[50:51], -v[2:3]
	v_mad_u64_u32 v[12:13], s[6:7], s4, v84, v[8:9]
	v_mul_f64 v[24:25], v[80:81], s[0:1]
	v_mul_f64 v[0:1], v[0:1], s[0:1]
	;; [unrolled: 1-line block ×3, first 2 shown]
	v_add_u32_e32 v13, s2, v13
	global_store_dwordx4 v[8:9], v[24:27], off
	global_store_dwordx4 v[12:13], v[0:3], off
	ds_read_b128 v[0:3], v88 offset:4032
	s_waitcnt vmcnt(9) lgkmcnt(1)
	v_mul_f64 v[8:9], v[6:7], v[42:43]
	v_fmac_f64_e32 v[8:9], v[4:5], v[40:41]
	v_mul_f64 v[4:5], v[4:5], v[42:43]
	v_fma_f64 v[4:5], v[40:41], v[6:7], -v[4:5]
	v_mul_f64 v[10:11], v[4:5], s[0:1]
	s_waitcnt vmcnt(8) lgkmcnt(0)
	v_mul_f64 v[4:5], v[2:3], v[54:55]
	v_fmac_f64_e32 v[4:5], v[0:1], v[52:53]
	v_mul_f64 v[0:1], v[0:1], v[54:55]
	v_mad_u64_u32 v[12:13], s[6:7], s4, v84, v[12:13]
	v_fma_f64 v[0:1], v[52:53], v[2:3], -v[0:1]
	v_mul_f64 v[8:9], v[8:9], s[0:1]
	v_add_u32_e32 v13, s2, v13
	v_mul_f64 v[6:7], v[0:1], s[0:1]
	ds_read_b128 v[0:3], v88 offset:4608
	global_store_dwordx4 v[12:13], v[8:11], off
	v_mad_u64_u32 v[12:13], s[6:7], s4, v84, v[12:13]
	v_mul_f64 v[4:5], v[4:5], s[0:1]
	v_add_u32_e32 v13, s2, v13
	global_store_dwordx4 v[12:13], v[4:7], off
	ds_read_b128 v[4:7], v88 offset:5184
	s_waitcnt vmcnt(9) lgkmcnt(1)
	v_mul_f64 v[8:9], v[2:3], v[58:59]
	v_fmac_f64_e32 v[8:9], v[0:1], v[56:57]
	v_mul_f64 v[0:1], v[0:1], v[58:59]
	v_fma_f64 v[0:1], v[56:57], v[2:3], -v[0:1]
	v_mul_f64 v[10:11], v[0:1], s[0:1]
	v_mad_u64_u32 v[12:13], s[6:7], s4, v84, v[12:13]
	s_waitcnt vmcnt(8) lgkmcnt(0)
	v_mul_f64 v[0:1], v[6:7], v[62:63]
	v_mul_f64 v[2:3], v[4:5], v[62:63]
	v_add_u32_e32 v13, s2, v13
	v_fmac_f64_e32 v[0:1], v[4:5], v[60:61]
	v_fma_f64 v[2:3], v[60:61], v[6:7], -v[2:3]
	v_mul_f64 v[8:9], v[8:9], s[0:1]
	v_mul_f64 v[0:1], v[0:1], s[0:1]
	v_mul_f64 v[2:3], v[2:3], s[0:1]
	v_mad_u64_u32 v[4:5], s[0:1], s4, v84, v[12:13]
	v_add_u32_e32 v5, s2, v5
	global_store_dwordx4 v[12:13], v[8:11], off
	global_store_dwordx4 v[4:5], v[0:3], off
.LBB0_15:
	s_endpgm
	.section	.rodata,"a",@progbits
	.p2align	6, 0x0
	.amdhsa_kernel bluestein_single_fwd_len360_dim1_dp_op_CI_CI
		.amdhsa_group_segment_fixed_size 23040
		.amdhsa_private_segment_fixed_size 0
		.amdhsa_kernarg_size 104
		.amdhsa_user_sgpr_count 2
		.amdhsa_user_sgpr_dispatch_ptr 0
		.amdhsa_user_sgpr_queue_ptr 0
		.amdhsa_user_sgpr_kernarg_segment_ptr 1
		.amdhsa_user_sgpr_dispatch_id 0
		.amdhsa_user_sgpr_kernarg_preload_length 0
		.amdhsa_user_sgpr_kernarg_preload_offset 0
		.amdhsa_user_sgpr_private_segment_size 0
		.amdhsa_uses_dynamic_stack 0
		.amdhsa_enable_private_segment 0
		.amdhsa_system_sgpr_workgroup_id_x 1
		.amdhsa_system_sgpr_workgroup_id_y 0
		.amdhsa_system_sgpr_workgroup_id_z 0
		.amdhsa_system_sgpr_workgroup_info 0
		.amdhsa_system_vgpr_workitem_id 0
		.amdhsa_next_free_vgpr 146
		.amdhsa_next_free_sgpr 28
		.amdhsa_accum_offset 148
		.amdhsa_reserve_vcc 1
		.amdhsa_float_round_mode_32 0
		.amdhsa_float_round_mode_16_64 0
		.amdhsa_float_denorm_mode_32 3
		.amdhsa_float_denorm_mode_16_64 3
		.amdhsa_dx10_clamp 1
		.amdhsa_ieee_mode 1
		.amdhsa_fp16_overflow 0
		.amdhsa_tg_split 0
		.amdhsa_exception_fp_ieee_invalid_op 0
		.amdhsa_exception_fp_denorm_src 0
		.amdhsa_exception_fp_ieee_div_zero 0
		.amdhsa_exception_fp_ieee_overflow 0
		.amdhsa_exception_fp_ieee_underflow 0
		.amdhsa_exception_fp_ieee_inexact 0
		.amdhsa_exception_int_div_zero 0
	.end_amdhsa_kernel
	.text
.Lfunc_end0:
	.size	bluestein_single_fwd_len360_dim1_dp_op_CI_CI, .Lfunc_end0-bluestein_single_fwd_len360_dim1_dp_op_CI_CI
                                        ; -- End function
	.section	.AMDGPU.csdata,"",@progbits
; Kernel info:
; codeLenInByte = 7836
; NumSgprs: 34
; NumVgprs: 146
; NumAgprs: 0
; TotalNumVgprs: 146
; ScratchSize: 0
; MemoryBound: 0
; FloatMode: 240
; IeeeMode: 1
; LDSByteSize: 23040 bytes/workgroup (compile time only)
; SGPRBlocks: 4
; VGPRBlocks: 18
; NumSGPRsForWavesPerEU: 34
; NumVGPRsForWavesPerEU: 146
; AccumOffset: 148
; Occupancy: 3
; WaveLimiterHint : 1
; COMPUTE_PGM_RSRC2:SCRATCH_EN: 0
; COMPUTE_PGM_RSRC2:USER_SGPR: 2
; COMPUTE_PGM_RSRC2:TRAP_HANDLER: 0
; COMPUTE_PGM_RSRC2:TGID_X_EN: 1
; COMPUTE_PGM_RSRC2:TGID_Y_EN: 0
; COMPUTE_PGM_RSRC2:TGID_Z_EN: 0
; COMPUTE_PGM_RSRC2:TIDIG_COMP_CNT: 0
; COMPUTE_PGM_RSRC3_GFX90A:ACCUM_OFFSET: 36
; COMPUTE_PGM_RSRC3_GFX90A:TG_SPLIT: 0
	.text
	.p2alignl 6, 3212836864
	.fill 256, 4, 3212836864
	.type	__hip_cuid_28902db3adef7800,@object ; @__hip_cuid_28902db3adef7800
	.section	.bss,"aw",@nobits
	.globl	__hip_cuid_28902db3adef7800
__hip_cuid_28902db3adef7800:
	.byte	0                               ; 0x0
	.size	__hip_cuid_28902db3adef7800, 1

	.ident	"AMD clang version 19.0.0git (https://github.com/RadeonOpenCompute/llvm-project roc-6.4.0 25133 c7fe45cf4b819c5991fe208aaa96edf142730f1d)"
	.section	".note.GNU-stack","",@progbits
	.addrsig
	.addrsig_sym __hip_cuid_28902db3adef7800
	.amdgpu_metadata
---
amdhsa.kernels:
  - .agpr_count:     0
    .args:
      - .actual_access:  read_only
        .address_space:  global
        .offset:         0
        .size:           8
        .value_kind:     global_buffer
      - .actual_access:  read_only
        .address_space:  global
        .offset:         8
        .size:           8
        .value_kind:     global_buffer
      - .actual_access:  read_only
        .address_space:  global
        .offset:         16
        .size:           8
        .value_kind:     global_buffer
      - .actual_access:  read_only
        .address_space:  global
        .offset:         24
        .size:           8
        .value_kind:     global_buffer
      - .actual_access:  read_only
        .address_space:  global
        .offset:         32
        .size:           8
        .value_kind:     global_buffer
      - .offset:         40
        .size:           8
        .value_kind:     by_value
      - .address_space:  global
        .offset:         48
        .size:           8
        .value_kind:     global_buffer
      - .address_space:  global
        .offset:         56
        .size:           8
        .value_kind:     global_buffer
      - .address_space:  global
        .offset:         64
        .size:           8
        .value_kind:     global_buffer
      - .address_space:  global
        .offset:         72
        .size:           8
        .value_kind:     global_buffer
      - .offset:         80
        .size:           4
        .value_kind:     by_value
      - .address_space:  global
        .offset:         88
        .size:           8
        .value_kind:     global_buffer
      - .address_space:  global
        .offset:         96
        .size:           8
        .value_kind:     global_buffer
    .group_segment_fixed_size: 23040
    .kernarg_segment_align: 8
    .kernarg_segment_size: 104
    .language:       OpenCL C
    .language_version:
      - 2
      - 0
    .max_flat_workgroup_size: 240
    .name:           bluestein_single_fwd_len360_dim1_dp_op_CI_CI
    .private_segment_fixed_size: 0
    .sgpr_count:     34
    .sgpr_spill_count: 0
    .symbol:         bluestein_single_fwd_len360_dim1_dp_op_CI_CI.kd
    .uniform_work_group_size: 1
    .uses_dynamic_stack: false
    .vgpr_count:     146
    .vgpr_spill_count: 0
    .wavefront_size: 64
amdhsa.target:   amdgcn-amd-amdhsa--gfx950
amdhsa.version:
  - 1
  - 2
...

	.end_amdgpu_metadata
